;; amdgpu-corpus repo=ROCm/rocFFT kind=compiled arch=gfx950 opt=O3
	.text
	.amdgcn_target "amdgcn-amd-amdhsa--gfx950"
	.amdhsa_code_object_version 6
	.protected	fft_rtc_fwd_len55_factors_5_11_wgs_253_tpt_11_half_ip_CI_unitstride_sbrr_dirReg ; -- Begin function fft_rtc_fwd_len55_factors_5_11_wgs_253_tpt_11_half_ip_CI_unitstride_sbrr_dirReg
	.globl	fft_rtc_fwd_len55_factors_5_11_wgs_253_tpt_11_half_ip_CI_unitstride_sbrr_dirReg
	.p2align	8
	.type	fft_rtc_fwd_len55_factors_5_11_wgs_253_tpt_11_half_ip_CI_unitstride_sbrr_dirReg,@function
fft_rtc_fwd_len55_factors_5_11_wgs_253_tpt_11_half_ip_CI_unitstride_sbrr_dirReg: ; @fft_rtc_fwd_len55_factors_5_11_wgs_253_tpt_11_half_ip_CI_unitstride_sbrr_dirReg
; %bb.0:
	s_load_dwordx2 s[8:9], s[0:1], 0x50
	s_load_dwordx4 s[4:7], s[0:1], 0x0
	s_load_dwordx2 s[10:11], s[0:1], 0x18
	v_mul_u32_u24_e32 v1, 0x1746, v0
	v_lshrrev_b32_e32 v2, 16, v1
	v_mad_u64_u32 v[4:5], s[2:3], s2, 23, v[2:3]
	v_mov_b32_e32 v6, 0
	v_mov_b32_e32 v5, v6
	s_waitcnt lgkmcnt(0)
	v_cmp_lt_u64_e64 s[2:3], s[6:7], 2
	s_and_b64 vcc, exec, s[2:3]
	v_mov_b64_e32 v[2:3], 0
	v_mov_b64_e32 v[10:11], v[4:5]
	s_cbranch_vccnz .LBB0_8
; %bb.1:
	s_load_dwordx2 s[2:3], s[0:1], 0x10
	s_add_u32 s12, s10, 8
	s_addc_u32 s13, s11, 0
	s_mov_b64 s[14:15], 1
	v_mov_b64_e32 v[2:3], 0
	s_waitcnt lgkmcnt(0)
	s_add_u32 s16, s2, 8
	s_addc_u32 s17, s3, 0
	v_mov_b64_e32 v[8:9], v[4:5]
.LBB0_2:                                ; =>This Inner Loop Header: Depth=1
	s_load_dwordx2 s[18:19], s[16:17], 0x0
                                        ; implicit-def: $vgpr10_vgpr11
	s_waitcnt lgkmcnt(0)
	v_or_b32_e32 v7, s19, v9
	v_cmp_ne_u64_e32 vcc, 0, v[6:7]
	s_and_saveexec_b64 s[2:3], vcc
	s_xor_b64 s[20:21], exec, s[2:3]
	s_cbranch_execz .LBB0_4
; %bb.3:                                ;   in Loop: Header=BB0_2 Depth=1
	v_cvt_f32_u32_e32 v1, s18
	v_cvt_f32_u32_e32 v5, s19
	s_sub_u32 s2, 0, s18
	s_subb_u32 s3, 0, s19
	v_fmac_f32_e32 v1, 0x4f800000, v5
	v_rcp_f32_e32 v1, v1
	s_nop 0
	v_mul_f32_e32 v1, 0x5f7ffffc, v1
	v_mul_f32_e32 v5, 0x2f800000, v1
	v_trunc_f32_e32 v5, v5
	v_fmac_f32_e32 v1, 0xcf800000, v5
	v_cvt_u32_f32_e32 v5, v5
	v_cvt_u32_f32_e32 v1, v1
	v_mul_lo_u32 v7, s2, v5
	v_mul_hi_u32 v10, s2, v1
	v_mul_lo_u32 v11, s3, v1
	v_add_u32_e32 v7, v10, v7
	v_mul_lo_u32 v14, s2, v1
	v_add_u32_e32 v7, v7, v11
	v_mul_hi_u32 v10, v1, v14
	v_mul_hi_u32 v13, v1, v7
	v_mul_lo_u32 v12, v1, v7
	v_mov_b32_e32 v11, v6
	v_lshl_add_u64 v[10:11], v[10:11], 0, v[12:13]
	v_mul_hi_u32 v13, v5, v14
	v_mul_lo_u32 v14, v5, v14
	v_add_co_u32_e32 v10, vcc, v10, v14
	v_mul_hi_u32 v12, v5, v7
	s_nop 0
	v_addc_co_u32_e32 v10, vcc, v11, v13, vcc
	v_mov_b32_e32 v11, v6
	s_nop 0
	v_addc_co_u32_e32 v13, vcc, 0, v12, vcc
	v_mul_lo_u32 v12, v5, v7
	v_lshl_add_u64 v[10:11], v[10:11], 0, v[12:13]
	v_add_co_u32_e32 v1, vcc, v1, v10
	v_mul_hi_u32 v10, s2, v1
	s_nop 0
	v_addc_co_u32_e32 v5, vcc, v5, v11, vcc
	v_mul_lo_u32 v7, s2, v5
	v_add_u32_e32 v7, v10, v7
	v_mul_lo_u32 v10, s3, v1
	v_add_u32_e32 v7, v7, v10
	v_mul_lo_u32 v12, s2, v1
	v_mul_hi_u32 v15, v5, v12
	v_mul_lo_u32 v16, v5, v12
	v_mul_hi_u32 v11, v1, v7
	;; [unrolled: 2-line block ×3, first 2 shown]
	v_mov_b32_e32 v13, v6
	v_lshl_add_u64 v[10:11], v[12:13], 0, v[10:11]
	v_add_co_u32_e32 v10, vcc, v10, v16
	v_mul_hi_u32 v14, v5, v7
	s_nop 0
	v_addc_co_u32_e32 v10, vcc, v11, v15, vcc
	v_mul_lo_u32 v12, v5, v7
	s_nop 0
	v_addc_co_u32_e32 v13, vcc, 0, v14, vcc
	v_mov_b32_e32 v11, v6
	v_lshl_add_u64 v[10:11], v[10:11], 0, v[12:13]
	v_add_co_u32_e32 v1, vcc, v1, v10
	v_mul_hi_u32 v12, v8, v1
	s_nop 0
	v_addc_co_u32_e32 v5, vcc, v5, v11, vcc
	v_mad_u64_u32 v[10:11], s[2:3], v8, v5, 0
	v_mov_b32_e32 v13, v6
	v_lshl_add_u64 v[10:11], v[12:13], 0, v[10:11]
	v_mad_u64_u32 v[14:15], s[2:3], v9, v1, 0
	v_add_co_u32_e32 v1, vcc, v10, v14
	v_mad_u64_u32 v[12:13], s[2:3], v9, v5, 0
	s_nop 0
	v_addc_co_u32_e32 v10, vcc, v11, v15, vcc
	v_mov_b32_e32 v11, v6
	s_nop 0
	v_addc_co_u32_e32 v13, vcc, 0, v13, vcc
	v_lshl_add_u64 v[10:11], v[10:11], 0, v[12:13]
	v_mul_lo_u32 v1, s19, v10
	v_mul_lo_u32 v5, s18, v11
	v_mad_u64_u32 v[12:13], s[2:3], s18, v10, 0
	v_add3_u32 v1, v13, v5, v1
	v_sub_u32_e32 v5, v9, v1
	v_mov_b32_e32 v7, s19
	v_sub_co_u32_e32 v16, vcc, v8, v12
	v_lshl_add_u64 v[14:15], v[10:11], 0, 1
	s_nop 0
	v_subb_co_u32_e64 v5, s[2:3], v5, v7, vcc
	v_subrev_co_u32_e64 v7, s[2:3], s18, v16
	v_subb_co_u32_e32 v1, vcc, v9, v1, vcc
	s_nop 0
	v_subbrev_co_u32_e64 v5, s[2:3], 0, v5, s[2:3]
	v_cmp_le_u32_e64 s[2:3], s19, v5
	v_cmp_le_u32_e32 vcc, s19, v1
	s_nop 0
	v_cndmask_b32_e64 v12, 0, -1, s[2:3]
	v_cmp_le_u32_e64 s[2:3], s18, v7
	s_nop 1
	v_cndmask_b32_e64 v7, 0, -1, s[2:3]
	v_cmp_eq_u32_e64 s[2:3], s19, v5
	s_nop 1
	v_cndmask_b32_e64 v5, v12, v7, s[2:3]
	v_lshl_add_u64 v[12:13], v[10:11], 0, 2
	v_cmp_ne_u32_e64 s[2:3], 0, v5
	v_cndmask_b32_e64 v7, 0, -1, vcc
	v_cmp_le_u32_e32 vcc, s18, v16
	v_cndmask_b32_e64 v5, v15, v13, s[2:3]
	s_nop 0
	v_cndmask_b32_e64 v13, 0, -1, vcc
	v_cmp_eq_u32_e32 vcc, s19, v1
	s_nop 1
	v_cndmask_b32_e32 v1, v7, v13, vcc
	v_cmp_ne_u32_e32 vcc, 0, v1
	v_cndmask_b32_e64 v1, v14, v12, s[2:3]
	s_nop 0
	v_cndmask_b32_e32 v11, v11, v5, vcc
	v_cndmask_b32_e32 v10, v10, v1, vcc
.LBB0_4:                                ;   in Loop: Header=BB0_2 Depth=1
	s_andn2_saveexec_b64 s[2:3], s[20:21]
	s_cbranch_execz .LBB0_6
; %bb.5:                                ;   in Loop: Header=BB0_2 Depth=1
	v_cvt_f32_u32_e32 v1, s18
	s_sub_i32 s20, 0, s18
	v_mov_b32_e32 v11, v6
	v_rcp_iflag_f32_e32 v1, v1
	s_nop 0
	v_mul_f32_e32 v1, 0x4f7ffffe, v1
	v_cvt_u32_f32_e32 v1, v1
	v_mul_lo_u32 v5, s20, v1
	v_mul_hi_u32 v5, v1, v5
	v_add_u32_e32 v1, v1, v5
	v_mul_hi_u32 v1, v8, v1
	v_mul_lo_u32 v5, v1, s18
	v_sub_u32_e32 v5, v8, v5
	v_add_u32_e32 v7, 1, v1
	v_subrev_u32_e32 v10, s18, v5
	v_cmp_le_u32_e32 vcc, s18, v5
	s_nop 1
	v_cndmask_b32_e32 v5, v5, v10, vcc
	v_cndmask_b32_e32 v1, v1, v7, vcc
	v_add_u32_e32 v7, 1, v1
	v_cmp_le_u32_e32 vcc, s18, v5
	s_nop 1
	v_cndmask_b32_e32 v10, v1, v7, vcc
.LBB0_6:                                ;   in Loop: Header=BB0_2 Depth=1
	s_or_b64 exec, exec, s[2:3]
	v_mad_u64_u32 v[12:13], s[2:3], v10, s18, 0
	s_load_dwordx2 s[2:3], s[12:13], 0x0
	s_add_u32 s14, s14, 1
	v_mul_lo_u32 v1, v11, s18
	v_mul_lo_u32 v5, v10, s19
	s_addc_u32 s15, s15, 0
	v_add3_u32 v1, v13, v5, v1
	v_sub_co_u32_e32 v5, vcc, v8, v12
	s_add_u32 s12, s12, 8
	s_nop 0
	v_subb_co_u32_e32 v1, vcc, v9, v1, vcc
	s_addc_u32 s13, s13, 0
	v_mov_b64_e32 v[8:9], s[6:7]
	s_waitcnt lgkmcnt(0)
	v_mul_lo_u32 v1, s2, v1
	v_mul_lo_u32 v7, s3, v5
	v_mad_u64_u32 v[2:3], s[2:3], s2, v5, v[2:3]
	s_add_u32 s16, s16, 8
	v_cmp_ge_u64_e32 vcc, s[14:15], v[8:9]
	v_add3_u32 v3, v7, v3, v1
	s_addc_u32 s17, s17, 0
	s_cbranch_vccnz .LBB0_8
; %bb.7:                                ;   in Loop: Header=BB0_2 Depth=1
	v_mov_b64_e32 v[8:9], v[10:11]
	s_branch .LBB0_2
.LBB0_8:
	s_lshl_b64 s[2:3], s[6:7], 3
	s_add_u32 s2, s10, s2
	s_addc_u32 s3, s11, s3
	s_load_dwordx2 s[6:7], s[2:3], 0x0
	s_load_dwordx2 s[10:11], s[0:1], 0x20
                                        ; implicit-def: $vgpr8
                                        ; implicit-def: $vgpr7
                                        ; implicit-def: $vgpr9
                                        ; implicit-def: $vgpr12
	s_waitcnt lgkmcnt(0)
	v_mad_u64_u32 v[2:3], s[0:1], s6, v10, v[2:3]
	v_mul_lo_u32 v1, s6, v11
	v_mul_lo_u32 v5, s7, v10
	s_mov_b32 s0, 0x1745d175
	v_add3_u32 v3, v5, v3, v1
	v_mul_hi_u32 v1, v0, s0
	v_mul_u32_u24_e32 v1, 11, v1
	v_cmp_gt_u64_e32 vcc, s[10:11], v[10:11]
	v_sub_u32_e32 v0, v0, v1
	v_lshl_add_u64 v[2:3], v[2:3], 2, s[8:9]
                                        ; implicit-def: $vgpr11
	s_and_saveexec_b64 s[0:1], vcc
	s_cbranch_execz .LBB0_10
; %bb.9:
	v_mov_b32_e32 v1, 0
	v_lshl_add_u64 v[14:15], v[0:1], 2, v[2:3]
	global_load_dword v8, v[14:15], off
	global_load_dword v7, v[14:15], off offset:44
	global_load_dword v9, v[14:15], off offset:88
	;; [unrolled: 1-line block ×4, first 2 shown]
.LBB0_10:
	s_or_b64 exec, exec, s[0:1]
	s_mov_b32 s0, 0xb21642c9
	v_mul_hi_u32 v1, v4, s0
	v_lshrrev_b32_e32 v1, 4, v1
	v_mul_lo_u32 v1, v1, 23
	v_sub_u32_e32 v1, v4, v1
	s_waitcnt vmcnt(1)
	v_pk_add_f16 v4, v9, v11
	s_waitcnt vmcnt(0)
	v_pk_add_f16 v13, v7, v12 neg_lo:[0,1] neg_hi:[0,1]
	s_movk_i32 s0, 0x3b9c
	v_pk_fma_f16 v4, v4, 0.5, v8 op_sel_hi:[1,0,1] neg_lo:[1,0,0] neg_hi:[1,0,0]
	v_pk_mul_f16 v5, v13, s0 op_sel_hi:[1,0]
	v_pk_add_f16 v14, v9, v11 neg_lo:[0,1] neg_hi:[0,1]
	s_movk_i32 s1, 0x38b4
	v_pk_add_f16 v15, v7, v9 neg_lo:[0,1] neg_hi:[0,1]
	v_pk_add_f16 v16, v12, v11 neg_lo:[0,1] neg_hi:[0,1]
	v_pk_mul_f16 v6, v14, s1 op_sel_hi:[1,0]
	v_pk_add_f16 v15, v15, v16
	v_pk_add_f16 v16, v4, v5 op_sel:[0,1] op_sel_hi:[1,0] neg_lo:[0,1] neg_hi:[0,1]
	v_pk_add_f16 v4, v4, v5 op_sel:[0,1] op_sel_hi:[1,0]
	s_mov_b32 s6, 0xffff
	v_pk_add_f16 v4, v4, v6 op_sel:[0,1] op_sel_hi:[1,0]
	v_pk_add_f16 v5, v16, v6 op_sel:[0,1] op_sel_hi:[1,0] neg_lo:[0,1] neg_hi:[0,1]
	s_movk_i32 s2, 0x34f2
	v_bfi_b32 v6, s6, v4, v5
	v_bfi_b32 v4, s6, v5, v4
	v_mul_u32_u24_e32 v10, 55, v1
	v_pk_add_f16 v1, v8, v7
	v_pk_fma_f16 v5, v15, s2, v4 op_sel_hi:[1,0,1]
	v_pk_add_f16 v4, v7, v12
	v_pk_add_f16 v1, v1, v9
	v_pk_fma_f16 v4, v4, 0.5, v8 op_sel_hi:[1,0,1] neg_lo:[1,0,0] neg_hi:[1,0,0]
	v_pk_mul_f16 v8, v14, s0 op_sel_hi:[1,0]
	v_pk_add_f16 v7, v9, v7 neg_lo:[0,1] neg_hi:[0,1]
	v_pk_add_f16 v9, v11, v12 neg_lo:[0,1] neg_hi:[0,1]
	v_pk_mul_f16 v13, v13, s1 op_sel_hi:[1,0]
	v_pk_add_f16 v9, v7, v9
	v_pk_add_f16 v7, v4, v8 op_sel:[0,1] op_sel_hi:[1,0]
	v_pk_add_f16 v4, v4, v8 op_sel:[0,1] op_sel_hi:[1,0] neg_lo:[0,1] neg_hi:[0,1]
	v_pk_add_f16 v1, v1, v11
	v_pk_add_f16 v4, v4, v13 op_sel:[0,1] op_sel_hi:[1,0]
	v_pk_add_f16 v8, v7, v13 op_sel:[0,1] op_sel_hi:[1,0] neg_lo:[0,1] neg_hi:[0,1]
	v_pk_add_f16 v1, v1, v12
	v_bfi_b32 v7, s6, v4, v8
	v_bfi_b32 v4, s6, v8, v4
	v_mad_u32_u24 v12, v0, 20, 0
	v_pk_fma_f16 v6, v15, s2, v6 op_sel_hi:[1,0,1]
	v_pk_fma_f16 v7, v9, s2, v7 op_sel_hi:[1,0,1]
	;; [unrolled: 1-line block ×3, first 2 shown]
	v_lshl_add_u32 v8, v10, 2, v12
	v_cmp_gt_u32_e64 s[0:1], 5, v0
	ds_write2_b32 v8, v1, v6 offset1:1
	ds_write2_b32 v8, v7, v4 offset0:2 offset1:3
	ds_write_b32 v8, v5 offset:16
	s_waitcnt lgkmcnt(0)
	s_barrier
	s_waitcnt lgkmcnt(0)
                                        ; implicit-def: $vgpr17
                                        ; implicit-def: $vgpr13
                                        ; implicit-def: $vgpr16
                                        ; implicit-def: $vgpr15
                                        ; implicit-def: $vgpr11
                                        ; implicit-def: $vgpr14
                                        ; implicit-def: $vgpr8
                                        ; implicit-def: $vgpr9
                                        ; implicit-def: $vgpr18
	s_and_saveexec_b64 s[2:3], s[0:1]
	s_cbranch_execnz .LBB0_13
; %bb.11:
	s_or_b64 exec, exec, s[2:3]
	s_and_b64 s[0:1], vcc, s[0:1]
	s_and_saveexec_b64 s[2:3], s[0:1]
	s_cbranch_execnz .LBB0_14
.LBB0_12:
	s_endpgm
.LBB0_13:
	v_lshlrev_b32_e32 v1, 2, v10
	v_lshlrev_b32_e32 v4, 2, v0
	v_add3_u32 v14, 0, v1, v4
	v_lshlrev_b32_e32 v4, 4, v0
	v_sub_u32_e32 v4, v12, v4
	v_add_u32_e32 v15, v4, v1
	ds_read2_b32 v[6:7], v15 offset0:5 offset1:10
	ds_read2_b32 v[4:5], v15 offset0:15 offset1:20
	;; [unrolled: 1-line block ×5, first 2 shown]
	ds_read_b32 v1, v14
	ds_read_u16 v14, v15 offset:142
	s_waitcnt lgkmcnt(4)
	v_lshrrev_b32_e32 v15, 16, v11
	s_waitcnt lgkmcnt(3)
	v_lshrrev_b32_e32 v16, 16, v12
	v_lshrrev_b32_e32 v17, 16, v13
	s_waitcnt lgkmcnt(2)
	v_bfi_b32 v18, s6, v9, v8
	v_bfi_b32 v9, s6, v10, v9
	s_or_b64 exec, exec, s[2:3]
	s_and_b64 s[0:1], vcc, s[0:1]
	s_and_saveexec_b64 s[2:3], s[0:1]
	s_cbranch_execz .LBB0_12
.LBB0_14:
	s_movk_i32 s0, 0xcd
	v_mul_lo_u16_sdwa v10, v0, s0 dst_sel:DWORD dst_unused:UNUSED_PAD src0_sel:BYTE_0 src1_sel:DWORD
	v_lshrrev_b16_e32 v10, 10, v10
	v_mul_lo_u16_e32 v10, 5, v10
	v_sub_u16_e32 v10, v0, v10
	v_mul_lo_u16_e32 v10, 10, v10
	v_and_b32_e32 v10, 0xfe, v10
	v_lshlrev_b32_e32 v10, 2, v10
	global_load_dwordx4 v[20:23], v10, s[4:5]
	global_load_dwordx2 v[28:29], v10, s[4:5] offset:32
	global_load_dwordx4 v[24:27], v10, s[4:5] offset:16
	v_lshrrev_b32_e32 v10, 16, v6
	v_lshrrev_b32_e32 v19, 16, v7
	v_lshrrev_b32_e32 v31, 16, v5
	v_lshrrev_b32_e32 v32, 16, v18
	v_lshrrev_b32_e32 v30, 16, v4
	v_lshrrev_b32_e32 v33, 16, v9
	s_mov_b32 s0, 0xbbad
	s_movk_i32 s1, 0x3abb
	s_mov_b32 s2, 0xb93d
	s_movk_i32 s3, 0x36a6
	s_mov_b32 s4, 0xb08e
	s_waitcnt vmcnt(2)
	v_mul_f16_sdwa v34, v10, v20 dst_sel:DWORD dst_unused:UNUSED_PAD src0_sel:DWORD src1_sel:WORD_1
	s_waitcnt vmcnt(1)
	v_mul_f16_sdwa v35, v17, v29 dst_sel:DWORD dst_unused:UNUSED_PAD src0_sel:DWORD src1_sel:WORD_1
	v_mul_f16_sdwa v36, v13, v29 dst_sel:DWORD dst_unused:UNUSED_PAD src0_sel:DWORD src1_sel:WORD_1
	;; [unrolled: 1-line block ×8, first 2 shown]
	s_waitcnt vmcnt(0)
	v_mul_f16_sdwa v50, v32, v24 dst_sel:DWORD dst_unused:UNUSED_PAD src0_sel:DWORD src1_sel:WORD_1
	v_mul_f16_sdwa v53, v8, v24 dst_sel:DWORD dst_unused:UNUSED_PAD src0_sel:DWORD src1_sel:WORD_1
	v_fma_f16 v6, v6, v20, -v34
	v_fma_f16 v13, v13, v29, -v35
	v_mul_f16_sdwa v40, v12, v28 dst_sel:DWORD dst_unused:UNUSED_PAD src0_sel:DWORD src1_sel:WORD_1
	v_mul_f16_sdwa v42, v30, v22 dst_sel:DWORD dst_unused:UNUSED_PAD src0_sel:DWORD src1_sel:WORD_1
	;; [unrolled: 1-line block ×4, first 2 shown]
	s_waitcnt lgkmcnt(0)
	v_mul_f16_sdwa v47, v14, v26 dst_sel:DWORD dst_unused:UNUSED_PAD src0_sel:DWORD src1_sel:WORD_1
	v_mul_f16_sdwa v48, v9, v26 dst_sel:DWORD dst_unused:UNUSED_PAD src0_sel:DWORD src1_sel:WORD_1
	;; [unrolled: 1-line block ×4, first 2 shown]
	v_fma_f16 v17, v17, v29, v36
	v_fma_f16 v10, v10, v20, v37
	v_fma_f16 v7, v7, v21, -v38
	v_fma_f16 v12, v12, v28, -v39
	v_fma_f16 v19, v19, v21, v41
	v_fma_f16 v5, v5, v23, -v46
	v_fma_f16 v21, v31, v23, v49
	;; [unrolled: 2-line block ×3, first 2 shown]
	v_sub_f16_e32 v24, v6, v13
	v_mul_f16_sdwa v44, v11, v27 dst_sel:DWORD dst_unused:UNUSED_PAD src0_sel:DWORD src1_sel:WORD_1
	v_fma_f16 v16, v16, v28, v40
	v_fma_f16 v4, v4, v22, -v42
	v_fma_f16 v11, v11, v27, -v43
	v_fma_f16 v20, v30, v22, v45
	v_fma_f16 v9, v9, v26, -v47
	v_fma_f16 v14, v14, v26, v48
	;; [unrolled: 2-line block ×3, first 2 shown]
	v_add_f16_e32 v25, v10, v17
	v_sub_f16_e32 v26, v7, v12
	v_mul_f16_e32 v39, 0xb482, v24
	v_fma_f16 v15, v15, v27, v44
	v_add_f16_e32 v27, v19, v16
	v_sub_f16_e32 v28, v4, v11
	v_mul_f16_e32 v40, 0x3853, v26
	v_fma_f16 v46, v25, s0, v39
	v_add_f16_e32 v29, v20, v15
	v_sub_f16_e32 v30, v5, v9
	v_sub_f16_e32 v35, v10, v17
	v_mul_f16_e32 v41, 0xba0c, v28
	v_fma_f16 v47, v27, s1, v40
	v_add_f16_sdwa v46, v1, v46 dst_sel:DWORD dst_unused:UNUSED_PAD src0_sel:WORD_1 src1_sel:DWORD
	v_add_f16_e32 v31, v21, v14
	v_sub_f16_e32 v32, v8, v18
	v_add_f16_e32 v34, v6, v13
	v_sub_f16_e32 v37, v19, v16
	v_mul_f16_e32 v42, 0x3b47, v30
	v_mul_f16_e32 v44, 0xb482, v35
	v_fma_f16 v48, v29, s2, v41
	v_add_f16_e32 v46, v46, v47
	v_add_f16_e32 v33, v23, v22
	;; [unrolled: 1-line block ×3, first 2 shown]
	v_mul_f16_e32 v43, 0xbbeb, v32
	v_mul_f16_e32 v45, 0x3853, v37
	v_fma_f16 v49, v31, s3, v42
	v_fma_f16 v51, v34, s0, -v44
	v_add_f16_e32 v46, v46, v48
	v_sub_f16_e32 v48, v20, v15
	v_add_f16_e32 v38, v4, v11
	v_fma_f16 v50, v33, s4, v43
	v_fma_f16 v52, v36, s1, -v45
	v_add_f16_e32 v51, v1, v51
	v_add_f16_e32 v46, v46, v49
	v_mul_f16_e32 v49, 0xba0c, v48
	v_add_f16_e32 v47, v51, v52
	v_add_f16_e32 v46, v46, v50
	v_fma_f16 v50, v38, s2, -v49
	v_sub_f16_e32 v51, v21, v14
	v_add_f16_e32 v47, v47, v50
	v_add_f16_e32 v50, v5, v9
	v_mul_f16_e32 v52, 0x3b47, v51
	v_fma_f16 v53, v50, s3, -v52
	v_sub_f16_e32 v54, v23, v22
	v_add_f16_e32 v47, v47, v53
	v_add_f16_e32 v53, v8, v18
	v_mul_f16_e32 v55, 0xbbeb, v54
	v_fma_f16 v56, v53, s4, -v55
	v_add_f16_e32 v47, v47, v56
	v_mul_f16_e32 v56, 0xba0c, v24
	v_fma_f16 v57, v25, s2, v56
	v_mul_f16_e32 v58, 0x3beb, v26
	v_add_f16_sdwa v57, v1, v57 dst_sel:DWORD dst_unused:UNUSED_PAD src0_sel:WORD_1 src1_sel:DWORD
	v_fma_f16 v59, v27, s4, v58
	v_add_f16_e32 v57, v57, v59
	v_mul_f16_e32 v59, 0xb853, v28
	v_fma_f16 v60, v29, s1, v59
	v_add_f16_e32 v57, v57, v60
	v_mul_f16_e32 v60, 0xb482, v30
	;; [unrolled: 3-line block ×4, first 2 shown]
	v_fma_f16 v63, v34, s2, -v62
	v_mul_f16_e32 v64, 0x3beb, v37
	v_add_f16_e32 v63, v1, v63
	v_fma_f16 v65, v36, s4, -v64
	v_add_f16_e32 v63, v63, v65
	v_mul_f16_e32 v65, 0xb853, v48
	v_add_f16_e32 v6, v1, v6
	v_fma_f16 v66, v38, s1, -v65
	v_add_f16_e32 v6, v6, v7
	v_add_f16_e32 v63, v63, v66
	v_mul_f16_e32 v66, 0xb482, v51
	v_add_f16_e32 v4, v6, v4
	v_fma_f16 v6, v25, s0, -v39
	v_fma_f16 v67, v50, s0, -v66
	v_add_f16_sdwa v6, v1, v6 dst_sel:DWORD dst_unused:UNUSED_PAD src0_sel:WORD_1 src1_sel:DWORD
	v_fma_f16 v7, v27, s1, -v40
	v_add_f16_e32 v63, v63, v67
	v_mul_f16_e32 v67, 0x3b47, v54
	v_add_f16_e32 v6, v6, v7
	v_fma_f16 v7, v29, s2, -v41
	v_fma_f16 v68, v53, s3, -v67
	v_add_f16_e32 v6, v6, v7
	v_fma_f16 v7, v31, s3, -v42
	v_add_f16_e32 v63, v63, v68
	v_mul_f16_e32 v68, 0xbbeb, v24
	v_add_f16_e32 v6, v6, v7
	v_fma_f16 v7, v33, s4, -v43
	v_fma_f16 v69, v25, s4, v68
	v_mul_f16_e32 v70, 0x3482, v26
	v_add_f16_e32 v4, v4, v5
	v_add_f16_e32 v6, v6, v7
	v_fma_f16 v7, v34, s0, v44
	v_add_f16_sdwa v69, v1, v69 dst_sel:DWORD dst_unused:UNUSED_PAD src0_sel:WORD_1 src1_sel:DWORD
	v_fma_f16 v71, v27, s0, v70
	v_add_f16_e32 v4, v4, v8
	v_add_f16_e32 v7, v1, v7
	v_fma_f16 v8, v36, s1, v45
	v_add_f16_e32 v69, v69, v71
	v_mul_f16_e32 v71, 0x3b47, v28
	v_add_f16_e32 v7, v7, v8
	v_fma_f16 v8, v38, s2, v49
	v_fma_f16 v72, v29, s3, v71
	v_add_f16_e32 v7, v7, v8
	v_fma_f16 v8, v50, s3, v52
	v_add_f16_e32 v69, v69, v72
	v_mul_f16_e32 v72, 0xb853, v30
	v_add_f16_e32 v7, v7, v8
	v_fma_f16 v8, v53, s4, v55
	v_fma_f16 v73, v31, s1, v72
	v_add_f16_e32 v4, v4, v18
	v_add_f16_e32 v7, v7, v8
	v_fma_f16 v8, v25, s2, -v56
	v_add_f16_e32 v69, v69, v73
	v_mul_f16_e32 v73, 0xba0c, v32
	v_add_f16_e32 v4, v9, v4
	v_add_f16_sdwa v8, v1, v8 dst_sel:DWORD dst_unused:UNUSED_PAD src0_sel:WORD_1 src1_sel:DWORD
	v_fma_f16 v9, v27, s4, -v58
	v_fma_f16 v74, v33, s2, v73
	v_add_f16_e32 v8, v8, v9
	v_fma_f16 v9, v29, s1, -v59
	v_add_f16_e32 v69, v69, v74
	v_mul_f16_e32 v74, 0xbbeb, v35
	v_add_f16_e32 v8, v8, v9
	v_fma_f16 v9, v31, s0, -v60
	v_fma_f16 v75, v34, s4, -v74
	v_mul_f16_e32 v76, 0x3482, v37
	v_add_f16_e32 v8, v8, v9
	v_fma_f16 v9, v33, s3, -v61
	v_add_f16_e32 v75, v1, v75
	v_fma_f16 v77, v36, s0, -v76
	v_add_f16_e32 v8, v8, v9
	v_fma_f16 v9, v34, s2, v62
	v_add_f16_e32 v75, v75, v77
	v_mul_f16_e32 v77, 0x3b47, v48
	v_add_f16_sdwa v5, v1, v10 dst_sel:DWORD dst_unused:UNUSED_PAD src0_sel:WORD_1 src1_sel:DWORD
	v_add_f16_e32 v9, v1, v9
	v_fma_f16 v10, v36, s4, v64
	v_fma_f16 v78, v38, s3, -v77
	v_add_f16_e32 v9, v9, v10
	v_fma_f16 v10, v38, s1, v65
	v_add_f16_e32 v75, v75, v78
	v_mul_f16_e32 v78, 0xb853, v51
	v_add_f16_e32 v9, v9, v10
	v_fma_f16 v10, v50, s0, v66
	v_fma_f16 v79, v50, s1, -v78
	v_add_f16_e32 v9, v9, v10
	v_fma_f16 v10, v53, s3, v67
	v_add_f16_e32 v75, v75, v79
	v_mul_f16_e32 v79, 0xba0c, v54
	v_add_f16_e32 v9, v9, v10
	v_fma_f16 v10, v25, s4, -v68
	v_fma_f16 v80, v53, s2, -v79
	v_add_f16_e32 v4, v11, v4
	v_add_f16_sdwa v10, v1, v10 dst_sel:DWORD dst_unused:UNUSED_PAD src0_sel:WORD_1 src1_sel:DWORD
	v_fma_f16 v11, v27, s0, -v70
	v_add_f16_e32 v75, v75, v80
	v_mul_f16_e32 v80, 0xbb47, v24
	v_add_f16_e32 v10, v10, v11
	v_fma_f16 v11, v29, s3, -v71
	v_fma_f16 v81, v25, s3, v80
	v_mul_f16_e32 v82, 0xba0c, v26
	v_add_f16_e32 v10, v10, v11
	v_fma_f16 v11, v31, s1, -v72
	v_add_f16_sdwa v81, v1, v81 dst_sel:DWORD dst_unused:UNUSED_PAD src0_sel:WORD_1 src1_sel:DWORD
	v_fma_f16 v83, v27, s2, v82
	v_add_f16_e32 v10, v10, v11
	v_fma_f16 v11, v33, s2, -v73
	v_add_f16_e32 v81, v81, v83
	v_mul_f16_e32 v83, 0x3482, v28
	v_add_f16_e32 v10, v10, v11
	v_fma_f16 v11, v34, s4, v74
	v_fma_f16 v84, v29, s0, v83
	v_add_f16_e32 v4, v12, v4
	v_add_f16_e32 v11, v1, v11
	v_fma_f16 v12, v36, s0, v76
	v_add_f16_e32 v81, v81, v84
	v_mul_f16_e32 v84, 0x3beb, v30
	v_add_f16_e32 v11, v11, v12
	v_fma_f16 v12, v38, s3, v77
	v_fma_f16 v85, v31, s4, v84
	v_add_f16_e32 v11, v11, v12
	v_fma_f16 v12, v50, s1, v78
	v_add_f16_e32 v81, v81, v85
	v_mul_f16_e32 v85, 0x3853, v32
	v_add_f16_e32 v11, v11, v12
	v_fma_f16 v12, v53, s2, v79
	v_fma_f16 v86, v33, s1, v85
	v_add_f16_e32 v11, v11, v12
	v_fma_f16 v12, v25, s3, -v80
	v_add_f16_e32 v81, v81, v86
	v_mul_f16_e32 v86, 0xbb47, v35
	v_add_f16_e32 v4, v13, v4
	v_add_f16_e32 v5, v5, v19
	v_add_f16_sdwa v12, v1, v12 dst_sel:DWORD dst_unused:UNUSED_PAD src0_sel:WORD_1 src1_sel:DWORD
	v_fma_f16 v13, v27, s2, -v82
	v_fma_f16 v87, v34, s3, -v86
	v_mul_f16_e32 v88, 0xba0c, v37
	v_add_f16_e32 v5, v5, v20
	v_add_f16_e32 v12, v12, v13
	v_fma_f16 v13, v29, s0, -v83
	v_add_f16_e32 v87, v1, v87
	v_fma_f16 v89, v36, s2, -v88
	v_add_f16_e32 v5, v5, v21
	v_add_f16_e32 v12, v12, v13
	v_fma_f16 v13, v31, s4, -v84
	v_add_f16_e32 v87, v87, v89
	v_mul_f16_e32 v89, 0x3482, v48
	v_add_f16_e32 v5, v5, v23
	v_add_f16_e32 v12, v12, v13
	v_fma_f16 v13, v33, s1, -v85
	v_fma_f16 v90, v38, s0, -v89
	v_add_f16_e32 v5, v5, v22
	v_add_f16_e32 v12, v12, v13
	v_fma_f16 v13, v34, s3, v86
	v_add_f16_e32 v87, v87, v90
	v_mul_f16_e32 v90, 0x3beb, v51
	v_add_f16_e32 v5, v14, v5
	v_add_f16_e32 v13, v1, v13
	v_fma_f16 v14, v36, s2, v88
	v_fma_f16 v91, v50, s4, -v90
	v_add_f16_e32 v13, v13, v14
	v_fma_f16 v14, v38, s0, v89
	v_add_f16_e32 v87, v87, v91
	v_mul_f16_e32 v91, 0x3853, v54
	v_add_f16_e32 v13, v13, v14
	v_fma_f16 v14, v50, s4, v90
	v_fma_f16 v92, v53, s1, -v91
	v_mul_f16_e32 v24, 0xb853, v24
	v_add_f16_e32 v13, v13, v14
	v_fma_f16 v14, v53, s1, v91
	v_add_f16_e32 v87, v87, v92
	v_fma_f16 v92, v25, s1, v24
	v_mul_f16_e32 v26, 0xbb47, v26
	v_add_f16_e32 v13, v13, v14
	v_fma_f16 v14, v25, s1, -v24
	v_add_f16_sdwa v92, v1, v92 dst_sel:DWORD dst_unused:UNUSED_PAD src0_sel:WORD_1 src1_sel:DWORD
	v_fma_f16 v93, v27, s3, v26
	v_mul_f16_e32 v28, 0xbbeb, v28
	v_add_f16_e32 v5, v15, v5
	v_add_f16_sdwa v14, v1, v14 dst_sel:DWORD dst_unused:UNUSED_PAD src0_sel:WORD_1 src1_sel:DWORD
	v_fma_f16 v15, v27, s3, -v26
	v_add_f16_e32 v92, v92, v93
	v_fma_f16 v93, v29, s4, v28
	v_mul_f16_e32 v30, 0xba0c, v30
	v_add_f16_e32 v14, v14, v15
	v_fma_f16 v15, v29, s4, -v28
	v_add_f16_e32 v92, v92, v93
	v_fma_f16 v93, v31, s2, v30
	v_mul_f16_e32 v32, 0xb482, v32
	v_add_f16_e32 v14, v14, v15
	;; [unrolled: 5-line block ×3, first 2 shown]
	v_fma_f16 v15, v33, s0, -v32
	v_add_f16_e32 v92, v92, v93
	v_fma_f16 v93, v34, s1, -v35
	v_mul_f16_e32 v37, 0xbb47, v37
	v_add_f16_e32 v14, v14, v15
	v_fma_f16 v15, v34, s1, v35
	v_add_f16_e32 v93, v1, v93
	v_mul_f16_e32 v48, 0xbbeb, v48
	v_add_f16_e32 v1, v1, v15
	v_fma_f16 v15, v36, s3, v37
	v_fma_f16 v94, v36, s3, -v37
	v_mul_f16_e32 v51, 0xba0c, v51
	v_add_f16_e32 v1, v1, v15
	v_fma_f16 v15, v38, s4, v48
	v_add_f16_e32 v93, v93, v94
	v_fma_f16 v94, v38, s4, -v48
	v_mul_f16_e32 v54, 0xb482, v54
	v_add_f16_e32 v1, v1, v15
	v_fma_f16 v15, v50, s2, v51
	v_add_f16_e32 v93, v93, v94
	v_fma_f16 v94, v50, s2, -v51
	v_add_f16_e32 v5, v16, v5
	v_add_f16_e32 v1, v1, v15
	v_fma_f16 v15, v53, s0, v54
	v_add_f16_e32 v93, v93, v94
	v_fma_f16 v94, v53, s0, -v54
	v_add_f16_e32 v5, v17, v5
	v_add_f16_e32 v15, v1, v15
	v_mov_b32_e32 v1, 0
	v_add_f16_e32 v93, v93, v94
	v_lshl_add_u64 v[0:1], v[0:1], 2, v[2:3]
	v_pack_b32_f16 v2, v4, v5
	global_store_dword v[0:1], v2, off
	v_pack_b32_f16 v2, v93, v92
	global_store_dword v[0:1], v2, off offset:20
	v_pack_b32_f16 v2, v87, v81
	global_store_dword v[0:1], v2, off offset:40
	;; [unrolled: 2-line block ×10, first 2 shown]
	s_endpgm
	.section	.rodata,"a",@progbits
	.p2align	6, 0x0
	.amdhsa_kernel fft_rtc_fwd_len55_factors_5_11_wgs_253_tpt_11_half_ip_CI_unitstride_sbrr_dirReg
		.amdhsa_group_segment_fixed_size 0
		.amdhsa_private_segment_fixed_size 0
		.amdhsa_kernarg_size 88
		.amdhsa_user_sgpr_count 2
		.amdhsa_user_sgpr_dispatch_ptr 0
		.amdhsa_user_sgpr_queue_ptr 0
		.amdhsa_user_sgpr_kernarg_segment_ptr 1
		.amdhsa_user_sgpr_dispatch_id 0
		.amdhsa_user_sgpr_kernarg_preload_length 0
		.amdhsa_user_sgpr_kernarg_preload_offset 0
		.amdhsa_user_sgpr_private_segment_size 0
		.amdhsa_uses_dynamic_stack 0
		.amdhsa_enable_private_segment 0
		.amdhsa_system_sgpr_workgroup_id_x 1
		.amdhsa_system_sgpr_workgroup_id_y 0
		.amdhsa_system_sgpr_workgroup_id_z 0
		.amdhsa_system_sgpr_workgroup_info 0
		.amdhsa_system_vgpr_workitem_id 0
		.amdhsa_next_free_vgpr 95
		.amdhsa_next_free_sgpr 22
		.amdhsa_accum_offset 96
		.amdhsa_reserve_vcc 1
		.amdhsa_float_round_mode_32 0
		.amdhsa_float_round_mode_16_64 0
		.amdhsa_float_denorm_mode_32 3
		.amdhsa_float_denorm_mode_16_64 3
		.amdhsa_dx10_clamp 1
		.amdhsa_ieee_mode 1
		.amdhsa_fp16_overflow 0
		.amdhsa_tg_split 0
		.amdhsa_exception_fp_ieee_invalid_op 0
		.amdhsa_exception_fp_denorm_src 0
		.amdhsa_exception_fp_ieee_div_zero 0
		.amdhsa_exception_fp_ieee_overflow 0
		.amdhsa_exception_fp_ieee_underflow 0
		.amdhsa_exception_fp_ieee_inexact 0
		.amdhsa_exception_int_div_zero 0
	.end_amdhsa_kernel
	.text
.Lfunc_end0:
	.size	fft_rtc_fwd_len55_factors_5_11_wgs_253_tpt_11_half_ip_CI_unitstride_sbrr_dirReg, .Lfunc_end0-fft_rtc_fwd_len55_factors_5_11_wgs_253_tpt_11_half_ip_CI_unitstride_sbrr_dirReg
                                        ; -- End function
	.section	.AMDGPU.csdata,"",@progbits
; Kernel info:
; codeLenInByte = 4288
; NumSgprs: 28
; NumVgprs: 95
; NumAgprs: 0
; TotalNumVgprs: 95
; ScratchSize: 0
; MemoryBound: 0
; FloatMode: 240
; IeeeMode: 1
; LDSByteSize: 0 bytes/workgroup (compile time only)
; SGPRBlocks: 3
; VGPRBlocks: 11
; NumSGPRsForWavesPerEU: 28
; NumVGPRsForWavesPerEU: 95
; AccumOffset: 96
; Occupancy: 5
; WaveLimiterHint : 1
; COMPUTE_PGM_RSRC2:SCRATCH_EN: 0
; COMPUTE_PGM_RSRC2:USER_SGPR: 2
; COMPUTE_PGM_RSRC2:TRAP_HANDLER: 0
; COMPUTE_PGM_RSRC2:TGID_X_EN: 1
; COMPUTE_PGM_RSRC2:TGID_Y_EN: 0
; COMPUTE_PGM_RSRC2:TGID_Z_EN: 0
; COMPUTE_PGM_RSRC2:TIDIG_COMP_CNT: 0
; COMPUTE_PGM_RSRC3_GFX90A:ACCUM_OFFSET: 23
; COMPUTE_PGM_RSRC3_GFX90A:TG_SPLIT: 0
	.text
	.p2alignl 6, 3212836864
	.fill 256, 4, 3212836864
	.type	__hip_cuid_30d00e7affa384b0,@object ; @__hip_cuid_30d00e7affa384b0
	.section	.bss,"aw",@nobits
	.globl	__hip_cuid_30d00e7affa384b0
__hip_cuid_30d00e7affa384b0:
	.byte	0                               ; 0x0
	.size	__hip_cuid_30d00e7affa384b0, 1

	.ident	"AMD clang version 19.0.0git (https://github.com/RadeonOpenCompute/llvm-project roc-6.4.0 25133 c7fe45cf4b819c5991fe208aaa96edf142730f1d)"
	.section	".note.GNU-stack","",@progbits
	.addrsig
	.addrsig_sym __hip_cuid_30d00e7affa384b0
	.amdgpu_metadata
---
amdhsa.kernels:
  - .agpr_count:     0
    .args:
      - .actual_access:  read_only
        .address_space:  global
        .offset:         0
        .size:           8
        .value_kind:     global_buffer
      - .offset:         8
        .size:           8
        .value_kind:     by_value
      - .actual_access:  read_only
        .address_space:  global
        .offset:         16
        .size:           8
        .value_kind:     global_buffer
      - .actual_access:  read_only
        .address_space:  global
        .offset:         24
        .size:           8
        .value_kind:     global_buffer
      - .offset:         32
        .size:           8
        .value_kind:     by_value
      - .actual_access:  read_only
        .address_space:  global
        .offset:         40
        .size:           8
        .value_kind:     global_buffer
      - .actual_access:  read_only
        .address_space:  global
        .offset:         48
        .size:           8
        .value_kind:     global_buffer
      - .offset:         56
        .size:           4
        .value_kind:     by_value
      - .actual_access:  read_only
        .address_space:  global
        .offset:         64
        .size:           8
        .value_kind:     global_buffer
      - .actual_access:  read_only
        .address_space:  global
        .offset:         72
        .size:           8
        .value_kind:     global_buffer
      - .address_space:  global
        .offset:         80
        .size:           8
        .value_kind:     global_buffer
    .group_segment_fixed_size: 0
    .kernarg_segment_align: 8
    .kernarg_segment_size: 88
    .language:       OpenCL C
    .language_version:
      - 2
      - 0
    .max_flat_workgroup_size: 253
    .name:           fft_rtc_fwd_len55_factors_5_11_wgs_253_tpt_11_half_ip_CI_unitstride_sbrr_dirReg
    .private_segment_fixed_size: 0
    .sgpr_count:     28
    .sgpr_spill_count: 0
    .symbol:         fft_rtc_fwd_len55_factors_5_11_wgs_253_tpt_11_half_ip_CI_unitstride_sbrr_dirReg.kd
    .uniform_work_group_size: 1
    .uses_dynamic_stack: false
    .vgpr_count:     95
    .vgpr_spill_count: 0
    .wavefront_size: 64
amdhsa.target:   amdgcn-amd-amdhsa--gfx950
amdhsa.version:
  - 1
  - 2
...

	.end_amdgpu_metadata
